;; amdgpu-corpus repo=ROCm/rocFFT kind=compiled arch=gfx1030 opt=O3
	.text
	.amdgcn_target "amdgcn-amd-amdhsa--gfx1030"
	.amdhsa_code_object_version 6
	.protected	fft_rtc_back_len1386_factors_2_7_3_11_3_wgs_231_tpt_231_halfLds_sp_ip_CI_unitstride_sbrr_dirReg ; -- Begin function fft_rtc_back_len1386_factors_2_7_3_11_3_wgs_231_tpt_231_halfLds_sp_ip_CI_unitstride_sbrr_dirReg
	.globl	fft_rtc_back_len1386_factors_2_7_3_11_3_wgs_231_tpt_231_halfLds_sp_ip_CI_unitstride_sbrr_dirReg
	.p2align	8
	.type	fft_rtc_back_len1386_factors_2_7_3_11_3_wgs_231_tpt_231_halfLds_sp_ip_CI_unitstride_sbrr_dirReg,@function
fft_rtc_back_len1386_factors_2_7_3_11_3_wgs_231_tpt_231_halfLds_sp_ip_CI_unitstride_sbrr_dirReg: ; @fft_rtc_back_len1386_factors_2_7_3_11_3_wgs_231_tpt_231_halfLds_sp_ip_CI_unitstride_sbrr_dirReg
; %bb.0:
	s_clause 0x2
	s_load_dwordx4 s[8:11], s[4:5], 0x0
	s_load_dwordx2 s[2:3], s[4:5], 0x50
	s_load_dwordx2 s[12:13], s[4:5], 0x18
	v_mul_u32_u24_e32 v1, 0x11c, v0
	v_mov_b32_e32 v3, 0
	v_add_nc_u32_sdwa v5, s6, v1 dst_sel:DWORD dst_unused:UNUSED_PAD src0_sel:DWORD src1_sel:WORD_1
	v_mov_b32_e32 v1, 0
	v_mov_b32_e32 v6, v3
	v_mov_b32_e32 v2, 0
	s_waitcnt lgkmcnt(0)
	v_cmp_lt_u64_e64 s0, s[10:11], 2
	s_and_b32 vcc_lo, exec_lo, s0
	s_cbranch_vccnz .LBB0_8
; %bb.1:
	s_load_dwordx2 s[0:1], s[4:5], 0x10
	v_mov_b32_e32 v1, 0
	s_add_u32 s6, s12, 8
	v_mov_b32_e32 v2, 0
	s_addc_u32 s7, s13, 0
	s_mov_b64 s[16:17], 1
	s_waitcnt lgkmcnt(0)
	s_add_u32 s14, s0, 8
	s_addc_u32 s15, s1, 0
.LBB0_2:                                ; =>This Inner Loop Header: Depth=1
	s_load_dwordx2 s[18:19], s[14:15], 0x0
                                        ; implicit-def: $vgpr7_vgpr8
	s_mov_b32 s0, exec_lo
	s_waitcnt lgkmcnt(0)
	v_or_b32_e32 v4, s19, v6
	v_cmpx_ne_u64_e32 0, v[3:4]
	s_xor_b32 s1, exec_lo, s0
	s_cbranch_execz .LBB0_4
; %bb.3:                                ;   in Loop: Header=BB0_2 Depth=1
	v_cvt_f32_u32_e32 v4, s18
	v_cvt_f32_u32_e32 v7, s19
	s_sub_u32 s0, 0, s18
	s_subb_u32 s20, 0, s19
	v_fmac_f32_e32 v4, 0x4f800000, v7
	v_rcp_f32_e32 v4, v4
	v_mul_f32_e32 v4, 0x5f7ffffc, v4
	v_mul_f32_e32 v7, 0x2f800000, v4
	v_trunc_f32_e32 v7, v7
	v_fmac_f32_e32 v4, 0xcf800000, v7
	v_cvt_u32_f32_e32 v7, v7
	v_cvt_u32_f32_e32 v4, v4
	v_mul_lo_u32 v8, s0, v7
	v_mul_hi_u32 v9, s0, v4
	v_mul_lo_u32 v10, s20, v4
	v_add_nc_u32_e32 v8, v9, v8
	v_mul_lo_u32 v9, s0, v4
	v_add_nc_u32_e32 v8, v8, v10
	v_mul_hi_u32 v10, v4, v9
	v_mul_lo_u32 v11, v4, v8
	v_mul_hi_u32 v12, v4, v8
	v_mul_hi_u32 v13, v7, v9
	v_mul_lo_u32 v9, v7, v9
	v_mul_hi_u32 v14, v7, v8
	v_mul_lo_u32 v8, v7, v8
	v_add_co_u32 v10, vcc_lo, v10, v11
	v_add_co_ci_u32_e32 v11, vcc_lo, 0, v12, vcc_lo
	v_add_co_u32 v9, vcc_lo, v10, v9
	v_add_co_ci_u32_e32 v9, vcc_lo, v11, v13, vcc_lo
	v_add_co_ci_u32_e32 v10, vcc_lo, 0, v14, vcc_lo
	v_add_co_u32 v8, vcc_lo, v9, v8
	v_add_co_ci_u32_e32 v9, vcc_lo, 0, v10, vcc_lo
	v_add_co_u32 v4, vcc_lo, v4, v8
	v_add_co_ci_u32_e32 v7, vcc_lo, v7, v9, vcc_lo
	v_mul_hi_u32 v8, s0, v4
	v_mul_lo_u32 v10, s20, v4
	v_mul_lo_u32 v9, s0, v7
	v_add_nc_u32_e32 v8, v8, v9
	v_mul_lo_u32 v9, s0, v4
	v_add_nc_u32_e32 v8, v8, v10
	v_mul_hi_u32 v10, v4, v9
	v_mul_lo_u32 v11, v4, v8
	v_mul_hi_u32 v12, v4, v8
	v_mul_hi_u32 v13, v7, v9
	v_mul_lo_u32 v9, v7, v9
	v_mul_hi_u32 v14, v7, v8
	v_mul_lo_u32 v8, v7, v8
	v_add_co_u32 v10, vcc_lo, v10, v11
	v_add_co_ci_u32_e32 v11, vcc_lo, 0, v12, vcc_lo
	v_add_co_u32 v9, vcc_lo, v10, v9
	v_add_co_ci_u32_e32 v9, vcc_lo, v11, v13, vcc_lo
	v_add_co_ci_u32_e32 v10, vcc_lo, 0, v14, vcc_lo
	v_add_co_u32 v8, vcc_lo, v9, v8
	v_add_co_ci_u32_e32 v9, vcc_lo, 0, v10, vcc_lo
	v_add_co_u32 v4, vcc_lo, v4, v8
	v_add_co_ci_u32_e32 v11, vcc_lo, v7, v9, vcc_lo
	v_mul_hi_u32 v13, v5, v4
	v_mad_u64_u32 v[9:10], null, v6, v4, 0
	v_mad_u64_u32 v[7:8], null, v5, v11, 0
	;; [unrolled: 1-line block ×3, first 2 shown]
	v_add_co_u32 v4, vcc_lo, v13, v7
	v_add_co_ci_u32_e32 v7, vcc_lo, 0, v8, vcc_lo
	v_add_co_u32 v4, vcc_lo, v4, v9
	v_add_co_ci_u32_e32 v4, vcc_lo, v7, v10, vcc_lo
	v_add_co_ci_u32_e32 v7, vcc_lo, 0, v12, vcc_lo
	v_add_co_u32 v4, vcc_lo, v4, v11
	v_add_co_ci_u32_e32 v9, vcc_lo, 0, v7, vcc_lo
	v_mul_lo_u32 v10, s19, v4
	v_mad_u64_u32 v[7:8], null, s18, v4, 0
	v_mul_lo_u32 v11, s18, v9
	v_sub_co_u32 v7, vcc_lo, v5, v7
	v_add3_u32 v8, v8, v11, v10
	v_sub_nc_u32_e32 v10, v6, v8
	v_subrev_co_ci_u32_e64 v10, s0, s19, v10, vcc_lo
	v_add_co_u32 v11, s0, v4, 2
	v_add_co_ci_u32_e64 v12, s0, 0, v9, s0
	v_sub_co_u32 v13, s0, v7, s18
	v_sub_co_ci_u32_e32 v8, vcc_lo, v6, v8, vcc_lo
	v_subrev_co_ci_u32_e64 v10, s0, 0, v10, s0
	v_cmp_le_u32_e32 vcc_lo, s18, v13
	v_cmp_eq_u32_e64 s0, s19, v8
	v_cndmask_b32_e64 v13, 0, -1, vcc_lo
	v_cmp_le_u32_e32 vcc_lo, s19, v10
	v_cndmask_b32_e64 v14, 0, -1, vcc_lo
	v_cmp_le_u32_e32 vcc_lo, s18, v7
	;; [unrolled: 2-line block ×3, first 2 shown]
	v_cndmask_b32_e64 v15, 0, -1, vcc_lo
	v_cmp_eq_u32_e32 vcc_lo, s19, v10
	v_cndmask_b32_e64 v7, v15, v7, s0
	v_cndmask_b32_e32 v10, v14, v13, vcc_lo
	v_add_co_u32 v13, vcc_lo, v4, 1
	v_add_co_ci_u32_e32 v14, vcc_lo, 0, v9, vcc_lo
	v_cmp_ne_u32_e32 vcc_lo, 0, v10
	v_cndmask_b32_e32 v8, v14, v12, vcc_lo
	v_cndmask_b32_e32 v10, v13, v11, vcc_lo
	v_cmp_ne_u32_e32 vcc_lo, 0, v7
	v_cndmask_b32_e32 v8, v9, v8, vcc_lo
	v_cndmask_b32_e32 v7, v4, v10, vcc_lo
.LBB0_4:                                ;   in Loop: Header=BB0_2 Depth=1
	s_andn2_saveexec_b32 s0, s1
	s_cbranch_execz .LBB0_6
; %bb.5:                                ;   in Loop: Header=BB0_2 Depth=1
	v_cvt_f32_u32_e32 v4, s18
	s_sub_i32 s1, 0, s18
	v_rcp_iflag_f32_e32 v4, v4
	v_mul_f32_e32 v4, 0x4f7ffffe, v4
	v_cvt_u32_f32_e32 v4, v4
	v_mul_lo_u32 v7, s1, v4
	v_mul_hi_u32 v7, v4, v7
	v_add_nc_u32_e32 v4, v4, v7
	v_mul_hi_u32 v4, v5, v4
	v_mul_lo_u32 v7, v4, s18
	v_add_nc_u32_e32 v8, 1, v4
	v_sub_nc_u32_e32 v7, v5, v7
	v_subrev_nc_u32_e32 v9, s18, v7
	v_cmp_le_u32_e32 vcc_lo, s18, v7
	v_cndmask_b32_e32 v7, v7, v9, vcc_lo
	v_cndmask_b32_e32 v4, v4, v8, vcc_lo
	v_cmp_le_u32_e32 vcc_lo, s18, v7
	v_add_nc_u32_e32 v8, 1, v4
	v_cndmask_b32_e32 v7, v4, v8, vcc_lo
	v_mov_b32_e32 v8, v3
.LBB0_6:                                ;   in Loop: Header=BB0_2 Depth=1
	s_or_b32 exec_lo, exec_lo, s0
	s_load_dwordx2 s[0:1], s[6:7], 0x0
	v_mul_lo_u32 v4, v8, s18
	v_mul_lo_u32 v11, v7, s19
	v_mad_u64_u32 v[9:10], null, v7, s18, 0
	s_add_u32 s16, s16, 1
	s_addc_u32 s17, s17, 0
	s_add_u32 s6, s6, 8
	s_addc_u32 s7, s7, 0
	;; [unrolled: 2-line block ×3, first 2 shown]
	v_add3_u32 v4, v10, v11, v4
	v_sub_co_u32 v5, vcc_lo, v5, v9
	v_sub_co_ci_u32_e32 v4, vcc_lo, v6, v4, vcc_lo
	s_waitcnt lgkmcnt(0)
	v_mul_lo_u32 v6, s1, v5
	v_mul_lo_u32 v4, s0, v4
	v_mad_u64_u32 v[1:2], null, s0, v5, v[1:2]
	v_cmp_ge_u64_e64 s0, s[16:17], s[10:11]
	s_and_b32 vcc_lo, exec_lo, s0
	v_add3_u32 v2, v6, v2, v4
	s_cbranch_vccnz .LBB0_9
; %bb.7:                                ;   in Loop: Header=BB0_2 Depth=1
	v_mov_b32_e32 v5, v7
	v_mov_b32_e32 v6, v8
	s_branch .LBB0_2
.LBB0_8:
	v_mov_b32_e32 v8, v6
	v_mov_b32_e32 v7, v5
.LBB0_9:
	s_lshl_b64 s[0:1], s[10:11], 3
	v_mul_hi_u32 v5, 0x11bb4a5, v0
	s_add_u32 s0, s12, s0
	s_addc_u32 s1, s13, s1
	v_mov_b32_e32 v11, 0
	s_load_dwordx2 s[0:1], s[0:1], 0x0
	s_load_dwordx2 s[4:5], s[4:5], 0x20
	v_mov_b32_e32 v12, 0
                                        ; implicit-def: $vgpr18
                                        ; implicit-def: $vgpr20
	v_mov_b32_e32 v14, v12
	v_mov_b32_e32 v16, v12
	;; [unrolled: 1-line block ×4, first 2 shown]
	s_waitcnt lgkmcnt(0)
	v_mul_lo_u32 v6, s0, v8
	v_mul_lo_u32 v9, s1, v7
	v_mad_u64_u32 v[3:4], null, s0, v7, v[1:2]
	v_mul_u32_u24_e32 v1, 0xe7, v5
	v_cmp_gt_u64_e32 vcc_lo, s[4:5], v[7:8]
	v_sub_nc_u32_e32 v2, v0, v1
	v_add3_u32 v4, v9, v4, v6
	v_lshlrev_b64 v[0:1], 3, v[3:4]
                                        ; implicit-def: $vgpr4
	s_and_saveexec_b32 s1, vcc_lo
	s_cbranch_execz .LBB0_11
; %bb.10:
	v_mov_b32_e32 v3, 0
	v_add_co_u32 v5, s0, s2, v0
	v_add_co_ci_u32_e64 v6, s0, s3, v1, s0
	v_lshlrev_b64 v[3:4], 3, v[2:3]
	v_add_co_u32 v5, s0, v5, v3
	v_add_co_ci_u32_e64 v6, s0, v6, v4, s0
	v_add_co_u32 v3, s0, 0x1000, v5
	v_add_co_ci_u32_e64 v4, s0, 0, v6, s0
	;; [unrolled: 2-line block ×5, first 2 shown]
	s_clause 0x5
	global_load_dwordx2 v[11:12], v[5:6], off
	global_load_dwordx2 v[17:18], v[7:8], off offset:1248
	global_load_dwordx2 v[3:4], v[3:4], off offset:1448
	global_load_dwordx2 v[13:14], v[5:6], off offset:1848
	global_load_dwordx2 v[15:16], v[9:10], off offset:1648
	global_load_dwordx2 v[19:20], v[19:20], off offset:1048
.LBB0_11:
	s_or_b32 exec_lo, exec_lo, s1
	s_waitcnt vmcnt(3)
	v_sub_f32_e32 v6, v11, v3
	s_waitcnt vmcnt(2)
	v_sub_f32_e32 v8, v13, v17
	v_add_nc_u32_e32 v23, 0xe7, v2
	s_waitcnt vmcnt(0)
	v_sub_f32_e32 v10, v15, v19
	v_lshl_add_u32 v17, v2, 3, 0
	v_fma_f32 v5, v11, 2.0, -v6
	v_fma_f32 v7, v13, 2.0, -v8
	v_lshl_add_u32 v21, v23, 3, 0
	v_fma_f32 v9, v15, 2.0, -v10
	v_add_nc_u32_e32 v22, 0xe70, v17
	v_cmp_gt_u32_e64 s0, 0xc6, v2
	v_lshlrev_b32_e32 v19, 2, v2
	ds_write_b64 v17, v[5:6]
	ds_write_b64 v21, v[7:8]
	ds_write_b64 v17, v[9:10] offset:3696
	s_waitcnt lgkmcnt(0)
	s_barrier
	buffer_gl0_inv
                                        ; implicit-def: $vgpr11
	s_and_saveexec_b32 s1, s0
	s_cbranch_execz .LBB0_13
; %bb.12:
	v_sub_nc_u32_e32 v3, v17, v19
	v_add_nc_u32_e32 v7, 0x600, v3
	v_add_nc_u32_e32 v9, 0xc00, v3
	ds_read2_b32 v[5:6], v3 offset1:198
	ds_read2_b32 v[7:8], v7 offset0:12 offset1:210
	ds_read2_b32 v[9:10], v9 offset0:24 offset1:222
	ds_read_b32 v11, v3 offset:4752
.LBB0_13:
	s_or_b32 exec_lo, exec_lo, s1
	v_sub_f32_e32 v4, v12, v4
	v_sub_f32_e32 v15, v14, v18
	;; [unrolled: 1-line block ×3, first 2 shown]
	s_waitcnt lgkmcnt(0)
	s_barrier
	v_fma_f32 v3, v12, 2.0, -v4
	v_fma_f32 v14, v14, 2.0, -v15
	;; [unrolled: 1-line block ×3, first 2 shown]
	buffer_gl0_inv
                                        ; implicit-def: $vgpr24
	ds_write_b64 v17, v[3:4]
	ds_write_b64 v21, v[14:15]
	;; [unrolled: 1-line block ×3, first 2 shown]
	s_waitcnt lgkmcnt(0)
	s_barrier
	buffer_gl0_inv
	s_and_saveexec_b32 s1, s0
	s_cbranch_execz .LBB0_15
; %bb.14:
	v_sub_nc_u32_e32 v16, v17, v19
	v_add_nc_u32_e32 v12, 0x600, v16
	v_add_nc_u32_e32 v13, 0xc00, v16
	ds_read2_b32 v[3:4], v16 offset1:198
	ds_read2_b32 v[14:15], v12 offset0:12 offset1:210
	ds_read2_b32 v[12:13], v13 offset0:24 offset1:222
	ds_read_b32 v24, v16 offset:4752
.LBB0_15:
	s_or_b32 exec_lo, exec_lo, s1
	v_and_b32_e32 v16, 1, v2
	v_mul_u32_u24_e32 v17, 6, v16
	v_lshlrev_b32_e32 v17, 3, v17
	s_clause 0x2
	global_load_dwordx4 v[25:28], v17, s[8:9]
	global_load_dwordx4 v[29:32], v17, s[8:9] offset:16
	global_load_dwordx4 v[33:36], v17, s[8:9] offset:32
	s_waitcnt vmcnt(0) lgkmcnt(0)
	s_barrier
	buffer_gl0_inv
	v_mul_f32_e32 v17, v4, v26
	v_mul_f32_e32 v18, v14, v28
	;; [unrolled: 1-line block ×11, first 2 shown]
	v_fmac_f32_e32 v17, v6, v25
	v_fmac_f32_e32 v18, v7, v27
	;; [unrolled: 1-line block ×4, first 2 shown]
	v_mul_f32_e32 v34, v10, v34
	v_fma_f32 v6, v4, v25, -v26
	v_fma_f32 v7, v14, v27, -v28
	v_fmac_f32_e32 v19, v8, v29
	v_fma_f32 v4, v15, v29, -v30
	v_fmac_f32_e32 v20, v9, v31
	v_fma_f32 v9, v12, v31, -v32
	v_fma_f32 v10, v24, v35, -v36
	v_add_f32_e32 v14, v17, v22
	v_add_f32_e32 v15, v18, v21
	v_fma_f32 v11, v13, v33, -v34
	v_add_f32_e32 v8, v19, v20
	v_sub_f32_e32 v24, v6, v10
	v_sub_f32_e32 v12, v9, v4
	v_add_f32_e32 v13, v15, v14
	v_sub_f32_e32 v27, v7, v11
	v_sub_f32_e32 v25, v14, v8
	;; [unrolled: 1-line block ×4, first 2 shown]
	v_add_f32_e32 v8, v8, v13
	v_add_f32_e32 v13, v12, v27
	v_sub_f32_e32 v31, v12, v27
	v_mul_f32_e32 v29, 0x3f4a47b2, v25
	v_mul_f32_e32 v30, 0xbeae86e6, v26
	v_add_f32_e32 v12, v5, v8
	v_add_f32_e32 v32, v13, v24
	v_fmamk_f32 v5, v28, 0x3d64c772, v29
	v_fmamk_f32 v13, v31, 0x3f08b237, v30
	v_fmamk_f32 v25, v8, 0xbf955555, v12
	v_lshrrev_b32_e32 v8, 1, v2
	v_fmac_f32_e32 v13, 0xbee1c552, v32
	v_add_f32_e32 v26, v5, v25
	v_sub_f32_e32 v5, v26, v13
	s_and_saveexec_b32 s1, s0
	s_cbranch_execz .LBB0_17
; %bb.16:
	v_sub_f32_e32 v14, v15, v14
	v_sub_f32_e32 v15, v27, v24
	v_mul_f32_e32 v24, 0x3f08b237, v31
	v_mul_f32_e32 v27, 0x3d64c772, v28
	;; [unrolled: 1-line block ×3, first 2 shown]
	v_fma_f32 v29, 0xbf3bfb3b, v14, -v29
	v_fma_f32 v30, 0x3f5ff5aa, v15, -v30
	;; [unrolled: 1-line block ×3, first 2 shown]
	v_mul_u32_u24_e32 v24, 14, v8
	v_fma_f32 v14, 0x3f3bfb3b, v14, -v27
	v_add_f32_e32 v27, v29, v25
	v_add_f32_e32 v29, v28, v30
	;; [unrolled: 1-line block ×3, first 2 shown]
	v_or_b32_e32 v24, v24, v16
	v_add_f32_e32 v14, v14, v25
	v_add_f32_e32 v13, v13, v26
	v_add_f32_e32 v26, v29, v27
	v_sub_f32_e32 v25, v27, v29
	v_lshl_add_u32 v24, v24, 2, 0
	v_sub_f32_e32 v28, v14, v15
	v_add_f32_e32 v14, v15, v14
	ds_write2_b32 v24, v12, v13 offset1:2
	ds_write2_b32 v24, v26, v28 offset0:4 offset1:6
	ds_write2_b32 v24, v14, v25 offset0:8 offset1:10
	ds_write_b32 v24, v5 offset:48
.LBB0_17:
	s_or_b32 exec_lo, exec_lo, s1
	v_add_f32_e32 v14, v6, v10
	v_add_f32_e32 v25, v7, v11
	v_sub_f32_e32 v15, v17, v22
	v_add_f32_e32 v4, v4, v9
	v_sub_f32_e32 v7, v20, v19
	v_lshl_add_u32 v24, v2, 2, 0
	v_add_f32_e32 v6, v25, v14
	v_sub_f32_e32 v17, v18, v21
	v_sub_f32_e32 v9, v14, v4
	;; [unrolled: 1-line block ×3, first 2 shown]
	v_add_nc_u32_e32 v12, 0x700, v24
	v_add_f32_e32 v11, v4, v6
	v_sub_f32_e32 v4, v15, v7
	v_add_nc_u32_e32 v13, 0xe40, v24
	v_add_f32_e32 v19, v7, v17
	v_sub_f32_e32 v27, v7, v17
	v_mul_f32_e32 v22, 0x3f4a47b2, v9
	v_add_f32_e32 v18, v3, v11
	v_mul_f32_e32 v26, 0xbeae86e6, v4
	s_waitcnt lgkmcnt(0)
	s_barrier
	buffer_gl0_inv
	ds_read2_b32 v[9:10], v24 offset1:231
	ds_read2_b32 v[3:4], v12 offset0:14 offset1:245
	ds_read2_b32 v[6:7], v13 offset0:12 offset1:243
	v_add_f32_e32 v29, v19, v15
	v_fmamk_f32 v21, v11, 0xbf955555, v18
	v_fmamk_f32 v11, v28, 0x3d64c772, v22
	;; [unrolled: 1-line block ×3, first 2 shown]
	s_waitcnt lgkmcnt(0)
	s_barrier
	buffer_gl0_inv
	v_add_f32_e32 v20, v11, v21
	v_fmac_f32_e32 v19, 0xbee1c552, v29
	v_add_f32_e32 v11, v19, v20
	s_and_saveexec_b32 s1, s0
	s_cbranch_execz .LBB0_19
; %bb.18:
	v_mul_f32_e32 v28, 0x3d64c772, v28
	v_sub_f32_e32 v14, v25, v14
	v_sub_f32_e32 v15, v17, v15
	v_mul_f32_e32 v17, 0x3f08b237, v27
	v_mul_u32_u24_e32 v8, 14, v8
	v_mul_f32_e32 v25, 0xbee1c552, v29
	v_fma_f32 v27, 0x3f3bfb3b, v14, -v28
	v_fma_f32 v14, 0xbf3bfb3b, v14, -v22
	;; [unrolled: 1-line block ×4, first 2 shown]
	v_or_b32_e32 v8, v8, v16
	v_add_f32_e32 v17, v27, v21
	v_add_f32_e32 v14, v14, v21
	;; [unrolled: 1-line block ×4, first 2 shown]
	v_sub_f32_e32 v16, v20, v19
	v_lshl_add_u32 v8, v8, 2, 0
	v_sub_f32_e32 v19, v14, v21
	v_add_f32_e32 v20, v15, v17
	v_sub_f32_e32 v15, v17, v15
	v_add_f32_e32 v14, v21, v14
	ds_write2_b32 v8, v18, v16 offset1:2
	ds_write2_b32 v8, v19, v20 offset0:4 offset1:6
	ds_write2_b32 v8, v15, v14 offset0:8 offset1:10
	ds_write_b32 v8, v11 offset:48
.LBB0_19:
	s_or_b32 exec_lo, exec_lo, s1
	v_lshrrev_b16 v8, 1, v2
	v_mov_b32_e32 v14, 0x4925
	s_waitcnt lgkmcnt(0)
	s_barrier
	buffer_gl0_inv
	v_and_b32_e32 v25, 0x7f, v8
	v_lshrrev_b16 v8, 1, v23
	v_cmp_gt_u32_e64 s0, 0x7e, v2
                                        ; implicit-def: $vgpr37
	v_mul_lo_u16 v15, 0x93, v25
	v_mul_u32_u24_sdwa v8, v8, v14 dst_sel:DWORD dst_unused:UNUSED_PAD src0_sel:WORD_0 src1_sel:DWORD
	v_lshrrev_b16 v19, 10, v15
	v_lshrrev_b32_e32 v8, 17, v8
	v_mov_b32_e32 v15, 4
	v_mul_lo_u16 v14, v19, 14
	v_mul_lo_u16 v16, v8, 14
	v_mul_u32_u24_e32 v8, 0xa8, v8
	v_sub_nc_u16 v20, v2, v14
	v_sub_nc_u16 v14, v23, v16
	v_lshlrev_b32_sdwa v16, v15, v20 dst_sel:DWORD dst_unused:UNUSED_PAD src0_sel:DWORD src1_sel:BYTE_0
	v_lshlrev_b32_sdwa v21, v15, v14 dst_sel:DWORD dst_unused:UNUSED_PAD src0_sel:DWORD src1_sel:WORD_0
	s_clause 0x1
	global_load_dwordx4 v[15:18], v16, s[8:9] offset:96
	global_load_dwordx4 v[27:30], v21, s[8:9] offset:96
	ds_read2_b32 v[31:32], v12 offset0:14 offset1:245
	ds_read2_b32 v[33:34], v13 offset0:12 offset1:243
	v_mov_b32_e32 v12, 2
	v_mov_b32_e32 v21, 0xa8
	v_lshlrev_b32_sdwa v22, v12, v14 dst_sel:DWORD dst_unused:UNUSED_PAD src0_sel:DWORD src1_sel:WORD_0
	v_mul_u32_u24_sdwa v19, v19, v21 dst_sel:DWORD dst_unused:UNUSED_PAD src0_sel:WORD_0 src1_sel:DWORD
	v_lshlrev_b32_sdwa v20, v12, v20 dst_sel:DWORD dst_unused:UNUSED_PAD src0_sel:DWORD src1_sel:BYTE_0
	ds_read2_b32 v[13:14], v24 offset1:231
	s_waitcnt vmcnt(0) lgkmcnt(0)
	v_add3_u32 v12, 0, v8, v22
	s_barrier
	v_add3_u32 v21, 0, v19, v20
	buffer_gl0_inv
	v_mul_f32_e32 v19, v31, v16
	v_mul_f32_e32 v26, v33, v18
	;; [unrolled: 1-line block ×8, first 2 shown]
	v_fmac_f32_e32 v19, v3, v15
	v_fmac_f32_e32 v26, v6, v17
	;; [unrolled: 1-line block ×4, first 2 shown]
	v_fma_f32 v28, v31, v15, -v8
	v_fma_f32 v3, v33, v17, -v16
	;; [unrolled: 1-line block ×4, first 2 shown]
	v_add_f32_e32 v6, v19, v26
	v_add_f32_e32 v8, v20, v22
	;; [unrolled: 1-line block ×3, first 2 shown]
	v_sub_f32_e32 v17, v28, v3
	v_add_f32_e32 v16, v10, v20
	v_fma_f32 v15, -0.5, v6, v9
	v_sub_f32_e32 v6, v4, v27
	v_fmac_f32_e32 v10, -0.5, v8
	v_add_f32_e32 v7, v7, v26
	v_add_f32_e32 v16, v16, v22
	v_fmamk_f32 v8, v17, 0xbf5db3d7, v15
	v_fmac_f32_e32 v15, 0x3f5db3d7, v17
	v_fmamk_f32 v9, v6, 0xbf5db3d7, v10
	v_fmac_f32_e32 v10, 0x3f5db3d7, v6
	ds_write2_b32 v21, v7, v8 offset1:14
	ds_write_b32 v21, v15 offset:112
	ds_write2_b32 v12, v16, v9 offset1:14
	ds_write_b32 v12, v10 offset:112
	s_waitcnt lgkmcnt(0)
	s_barrier
	buffer_gl0_inv
                                        ; implicit-def: $vgpr18
	s_and_saveexec_b32 s1, s0
	s_cbranch_execz .LBB0_21
; %bb.20:
	v_add_nc_u32_e32 v5, 0x200, v24
	v_add_nc_u32_e32 v6, 0x600, v24
	;; [unrolled: 1-line block ×4, first 2 shown]
	ds_read2_b32 v[7:8], v24 offset1:126
	ds_read2_b32 v[15:16], v5 offset0:124 offset1:250
	ds_read2_b32 v[9:10], v6 offset0:120 offset1:246
	ds_read2_b32 v[5:6], v17 offset0:116 offset1:242
	ds_read2_b32 v[17:18], v18 offset0:112 offset1:238
	ds_read_b32 v37, v24 offset:5040
.LBB0_21:
	s_or_b32 exec_lo, exec_lo, s1
	v_add_f32_e32 v29, v28, v3
	v_add_f32_e32 v30, v4, v27
	v_add_f32_e32 v28, v13, v28
	v_sub_f32_e32 v26, v19, v26
	v_sub_f32_e32 v22, v20, v22
	v_fma_f32 v19, -0.5, v29, v13
	v_add_f32_e32 v13, v14, v4
	v_fmac_f32_e32 v14, -0.5, v30
	v_add_f32_e32 v3, v28, v3
	s_waitcnt lgkmcnt(0)
	v_fmamk_f32 v4, v26, 0x3f5db3d7, v19
	v_fmac_f32_e32 v19, 0xbf5db3d7, v26
	v_add_f32_e32 v20, v13, v27
	v_fmamk_f32 v13, v22, 0x3f5db3d7, v14
	v_fmac_f32_e32 v14, 0xbf5db3d7, v22
	s_barrier
	buffer_gl0_inv
	ds_write2_b32 v21, v3, v4 offset1:14
	ds_write_b32 v21, v19 offset:112
	ds_write2_b32 v12, v20, v13 offset1:14
	ds_write_b32 v12, v14 offset:112
	s_waitcnt lgkmcnt(0)
	s_barrier
	buffer_gl0_inv
                                        ; implicit-def: $vgpr38
                                        ; implicit-def: $vgpr22
	s_and_saveexec_b32 s1, s0
	s_cbranch_execz .LBB0_23
; %bb.22:
	v_add_nc_u32_e32 v11, 0x200, v24
	v_add_nc_u32_e32 v12, 0x600, v24
	;; [unrolled: 1-line block ×4, first 2 shown]
	ds_read2_b32 v[3:4], v24 offset1:126
	ds_read2_b32 v[19:20], v11 offset0:124 offset1:250
	ds_read2_b32 v[13:14], v12 offset0:120 offset1:246
	;; [unrolled: 1-line block ×4, first 2 shown]
	ds_read_b32 v38, v24 offset:5040
.LBB0_23:
	s_or_b32 exec_lo, exec_lo, s1
	v_mul_lo_u16 v25, v25, 49
	v_mov_b32_e32 v27, 10
	v_lshrrev_b16 v25, 10, v25
	v_mul_lo_u16 v26, v25, 42
	v_sub_nc_u16 v26, v2, v26
	v_mul_u32_u24_sdwa v27, v26, v27 dst_sel:DWORD dst_unused:UNUSED_PAD src0_sel:BYTE_0 src1_sel:DWORD
	v_lshlrev_b32_e32 v27, 3, v27
	s_clause 0x4
	global_load_dwordx4 v[39:42], v27, s[8:9] offset:320
	global_load_dwordx4 v[43:46], v27, s[8:9] offset:336
	;; [unrolled: 1-line block ×5, first 2 shown]
	s_waitcnt vmcnt(0) lgkmcnt(0)
	s_barrier
	buffer_gl0_inv
	v_mul_f32_e32 v34, v4, v40
	v_mul_f32_e32 v33, v8, v40
	;; [unrolled: 1-line block ×14, first 2 shown]
	v_fmac_f32_e32 v34, v8, v39
	v_fma_f32 v35, v4, v39, -v33
	v_fmac_f32_e32 v32, v15, v41
	v_fma_f32 v19, v19, v41, -v36
	v_mul_f32_e32 v15, v21, v54
	v_mul_f32_e32 v4, v17, v54
	;; [unrolled: 1-line block ×6, first 2 shown]
	v_fmac_f32_e32 v31, v16, v43
	v_fma_f32 v16, v20, v43, -v40
	v_fmac_f32_e32 v29, v9, v45
	v_fma_f32 v13, v13, v45, -v42
	;; [unrolled: 2-line block ×8, first 2 shown]
	s_and_saveexec_b32 s1, s0
	s_cbranch_execz .LBB0_25
; %bb.24:
	v_sub_f32_e32 v4, v35, v17
	v_add_f32_e32 v5, v34, v36
	v_sub_f32_e32 v8, v19, v18
	v_add_f32_e32 v6, v32, v33
	v_sub_f32_e32 v21, v16, v14
	v_mul_f32_e32 v20, 0xbe903f40, v4
	v_add_f32_e32 v9, v31, v15
	v_mul_f32_e32 v38, 0x3f0a6770, v8
	v_sub_f32_e32 v37, v13, v12
	v_mul_f32_e32 v42, 0xbf4178ce, v21
	v_fma_f32 v39, 0xbf75a155, v5, -v20
	v_add_f32_e32 v22, v29, v30
	v_fma_f32 v43, 0x3f575c64, v6, -v38
	v_sub_f32_e32 v41, v10, v11
	v_mul_f32_e32 v44, 0x3f68dda4, v37
	v_add_f32_e32 v39, v7, v39
	v_fmac_f32_e32 v20, 0xbf75a155, v5
	v_fma_f32 v46, 0xbf27a4f4, v9, -v42
	v_add_f32_e32 v40, v27, v28
	v_mul_f32_e32 v45, 0xbf7d64f0, v41
	v_add_f32_e32 v39, v43, v39
	v_mul_f32_e32 v43, 0xbf4178ce, v4
	v_fmac_f32_e32 v38, 0x3f575c64, v6
	v_add_f32_e32 v20, v7, v20
	v_fma_f32 v47, 0x3ed4b147, v22, -v44
	v_add_f32_e32 v39, v46, v39
	v_fma_f32 v46, 0xbe11bafb, v40, -v45
	v_fmac_f32_e32 v42, 0xbf27a4f4, v9
	v_add_f32_e32 v20, v38, v20
	v_fma_f32 v38, 0xbf27a4f4, v5, -v43
	v_add_f32_e32 v39, v47, v39
	v_mul_f32_e32 v47, 0x3f7d64f0, v8
	v_fmac_f32_e32 v44, 0x3ed4b147, v22
	v_add_f32_e32 v20, v42, v20
	v_add_f32_e32 v38, v7, v38
	;; [unrolled: 1-line block ×3, first 2 shown]
	v_fma_f32 v42, 0xbe11bafb, v6, -v47
	v_mul_f32_e32 v46, 0xbf0a6770, v21
	v_add_f32_e32 v20, v44, v20
	v_fmac_f32_e32 v45, 0xbe11bafb, v40
	v_fmac_f32_e32 v43, 0xbf27a4f4, v5
	v_add_f32_e32 v38, v42, v38
	v_fma_f32 v42, 0x3f575c64, v9, -v46
	v_mul_f32_e32 v44, 0xbe903f40, v37
	v_add_f32_e32 v20, v45, v20
	v_add_f32_e32 v43, v7, v43
	v_fmac_f32_e32 v47, 0xbe11bafb, v6
	v_add_f32_e32 v38, v42, v38
	v_fma_f32 v42, 0xbf75a155, v22, -v44
	v_mul_f32_e32 v45, 0x3f68dda4, v41
	v_mul_f32_e32 v48, 0xbf7d64f0, v4
	v_add_f32_e32 v43, v47, v43
	v_fmac_f32_e32 v46, 0x3f575c64, v9
	v_add_f32_e32 v38, v42, v38
	v_fma_f32 v42, 0x3ed4b147, v40, -v45
	v_fma_f32 v47, 0xbe11bafb, v5, -v48
	v_mul_f32_e32 v49, 0x3e903f40, v8
	v_add_f32_e32 v43, v46, v43
	v_fmac_f32_e32 v44, 0xbf75a155, v22
	v_add_f32_e32 v38, v42, v38
	v_add_f32_e32 v42, v7, v47
	v_fma_f32 v46, 0xbf75a155, v6, -v49
	v_mul_f32_e32 v47, 0x3f68dda4, v21
	v_add_f32_e32 v43, v44, v43
	v_fmac_f32_e32 v45, 0x3ed4b147, v40
	v_fmac_f32_e32 v48, 0xbe11bafb, v5
	v_add_f32_e32 v42, v46, v42
	v_fma_f32 v44, 0x3ed4b147, v9, -v47
	v_mul_f32_e32 v46, 0xbf0a6770, v37
	v_add_f32_e32 v43, v45, v43
	v_add_f32_e32 v45, v7, v48
	v_fmac_f32_e32 v49, 0xbf75a155, v6
	v_add_f32_e32 v42, v44, v42
	v_fma_f32 v44, 0x3f575c64, v22, -v46
	v_mul_f32_e32 v48, 0xbf4178ce, v41
	v_mul_f32_e32 v50, 0xbf68dda4, v4
	v_add_f32_e32 v45, v49, v45
	v_fmac_f32_e32 v47, 0x3ed4b147, v9
	v_add_f32_e32 v42, v44, v42
	v_fma_f32 v44, 0xbf27a4f4, v40, -v48
	v_fma_f32 v49, 0x3ed4b147, v5, -v50
	v_mul_f32_e32 v51, 0xbf4178ce, v8
	v_fmac_f32_e32 v50, 0x3ed4b147, v5
	v_add_f32_e32 v45, v47, v45
	v_fmac_f32_e32 v46, 0x3f575c64, v22
	v_add_f32_e32 v42, v44, v42
	v_add_f32_e32 v44, v7, v49
	v_fma_f32 v47, 0xbf27a4f4, v6, -v51
	v_mul_f32_e32 v49, 0x3e903f40, v21
	v_add_f32_e32 v50, v7, v50
	v_fmac_f32_e32 v51, 0xbf27a4f4, v6
	v_add_f32_e32 v45, v46, v45
	v_fmac_f32_e32 v48, 0xbf27a4f4, v40
	v_add_f32_e32 v44, v47, v44
	v_fma_f32 v46, 0xbf75a155, v9, -v49
	v_mul_f32_e32 v47, 0x3f7d64f0, v37
	v_add_f32_e32 v50, v51, v50
	v_fmac_f32_e32 v49, 0xbf75a155, v9
	v_add_f32_e32 v51, v7, v34
	v_add_f32_e32 v45, v48, v45
	;; [unrolled: 1-line block ×3, first 2 shown]
	v_fma_f32 v46, 0xbe11bafb, v22, -v47
	v_mul_f32_e32 v48, 0x3f0a6770, v41
	v_add_f32_e32 v49, v49, v50
	v_add_f32_e32 v50, v51, v32
	v_mul_f32_e32 v4, 0xbf0a6770, v4
	v_add_f32_e32 v44, v46, v44
	v_fma_f32 v46, 0x3f575c64, v40, -v48
	v_fmac_f32_e32 v47, 0xbe11bafb, v22
	v_add_f32_e32 v50, v50, v31
	v_mul_f32_e32 v8, 0xbf68dda4, v8
	v_mul_f32_e32 v21, 0xbf7d64f0, v21
	v_add_f32_e32 v44, v46, v44
	v_fma_f32 v46, 0x3f575c64, v5, -v4
	v_add_f32_e32 v47, v47, v49
	v_add_f32_e32 v49, v50, v29
	v_fmac_f32_e32 v4, 0x3f575c64, v5
	v_mul_f32_e32 v37, 0xbf4178ce, v37
	v_add_f32_e32 v5, v7, v46
	v_fma_f32 v46, 0x3ed4b147, v6, -v8
	v_fmac_f32_e32 v8, 0x3ed4b147, v6
	v_add_f32_e32 v6, v49, v27
	v_add_f32_e32 v4, v7, v4
	v_fma_f32 v7, 0xbe11bafb, v9, -v21
	v_fmac_f32_e32 v21, 0xbe11bafb, v9
	v_add_f32_e32 v5, v46, v5
	v_add_f32_e32 v6, v6, v28
	;; [unrolled: 1-line block ×3, first 2 shown]
	v_mov_b32_e32 v9, 0x738
	v_mul_f32_e32 v8, 0xbe903f40, v41
	v_add_f32_e32 v5, v7, v5
	v_add_f32_e32 v6, v6, v30
	;; [unrolled: 1-line block ×3, first 2 shown]
	v_mov_b32_e32 v21, 2
	v_fma_f32 v7, 0xbf27a4f4, v22, -v37
	v_fmac_f32_e32 v37, 0xbf27a4f4, v22
	v_add_f32_e32 v6, v6, v15
	v_mul_u32_u24_sdwa v9, v25, v9 dst_sel:DWORD dst_unused:UNUSED_PAD src0_sel:WORD_0 src1_sel:DWORD
	v_lshlrev_b32_sdwa v21, v21, v26 dst_sel:DWORD dst_unused:UNUSED_PAD src0_sel:DWORD src1_sel:BYTE_0
	v_fma_f32 v22, 0xbf75a155, v40, -v8
	v_add_f32_e32 v4, v37, v4
	v_fmac_f32_e32 v8, 0xbf75a155, v40
	v_add_f32_e32 v6, v6, v33
	v_fmac_f32_e32 v48, 0x3f575c64, v40
	v_add_f32_e32 v5, v7, v5
	v_add3_u32 v7, 0, v9, v21
	v_add_f32_e32 v4, v8, v4
	v_add_f32_e32 v6, v6, v36
	;; [unrolled: 1-line block ×4, first 2 shown]
	v_add_nc_u32_e32 v9, 0x200, v7
	v_add_nc_u32_e32 v21, 0x400, v7
	ds_write2_b32 v7, v6, v4 offset1:42
	ds_write2_b32 v7, v8, v45 offset0:84 offset1:126
	ds_write2_b32 v7, v43, v20 offset0:168 offset1:210
	;; [unrolled: 1-line block ×4, first 2 shown]
	ds_write_b32 v7, v5 offset:1680
.LBB0_25:
	s_or_b32 exec_lo, exec_lo, s1
	v_add_nc_u32_e32 v6, 0x700, v24
	v_add_nc_u32_e32 v8, 0xe40, v24
	s_waitcnt lgkmcnt(0)
	s_barrier
	buffer_gl0_inv
	ds_read2_b32 v[4:5], v24 offset1:231
	ds_read2_b32 v[6:7], v6 offset0:14 offset1:245
	ds_read2_b32 v[8:9], v8 offset0:12 offset1:243
	s_waitcnt lgkmcnt(0)
	s_barrier
	buffer_gl0_inv
	s_and_saveexec_b32 s1, s0
	s_cbranch_execz .LBB0_27
; %bb.26:
	v_add_f32_e32 v20, v3, v35
	v_sub_f32_e32 v22, v34, v36
	v_add_f32_e32 v34, v19, v18
	v_add_f32_e32 v21, v35, v17
	v_sub_f32_e32 v32, v32, v33
	v_add_f32_e32 v19, v20, v19
	v_sub_f32_e32 v15, v31, v15
	v_mul_f32_e32 v37, 0x3ed4b147, v34
	v_mul_f32_e32 v20, 0x3f575c64, v21
	;; [unrolled: 1-line block ×3, first 2 shown]
	v_add_f32_e32 v19, v19, v16
	v_mul_f32_e32 v35, 0xbe11bafb, v21
	v_mul_f32_e32 v36, 0xbf27a4f4, v21
	;; [unrolled: 1-line block ×3, first 2 shown]
	v_fmamk_f32 v40, v22, 0x3f0a6770, v20
	v_add_f32_e32 v19, v19, v13
	v_fmac_f32_e32 v20, 0xbf0a6770, v22
	v_mul_f32_e32 v38, 0xbf27a4f4, v34
	v_fmamk_f32 v41, v22, 0x3f68dda4, v33
	v_fmac_f32_e32 v33, 0xbf68dda4, v22
	v_add_f32_e32 v19, v19, v10
	v_fmamk_f32 v42, v22, 0x3f7d64f0, v35
	v_fmac_f32_e32 v35, 0xbf7d64f0, v22
	v_fmamk_f32 v43, v22, 0x3f4178ce, v36
	v_fmac_f32_e32 v36, 0xbf4178ce, v22
	v_add_f32_e32 v19, v19, v11
	v_fmamk_f32 v44, v22, 0x3e903f40, v21
	v_fmac_f32_e32 v21, 0xbe903f40, v22
	v_fmamk_f32 v22, v32, 0x3f68dda4, v37
	v_fmac_f32_e32 v37, 0xbf68dda4, v32
	v_add_f32_e32 v19, v19, v12
	v_add_f32_e32 v20, v3, v20
	v_mul_f32_e32 v39, 0xbf75a155, v34
	v_fmamk_f32 v45, v32, 0x3f4178ce, v38
	v_add_f32_e32 v33, v3, v33
	v_add_f32_e32 v19, v19, v14
	v_fmac_f32_e32 v38, 0xbf4178ce, v32
	v_add_f32_e32 v14, v16, v14
	v_add_f32_e32 v40, v3, v40
	;; [unrolled: 1-line block ×7, first 2 shown]
	v_mul_f32_e32 v31, 0xbe11bafb, v14
	v_add_f32_e32 v17, v18, v17
	v_add_f32_e32 v18, v37, v20
	v_mul_f32_e32 v37, 0xbe11bafb, v34
	v_mul_f32_e32 v34, 0x3f575c64, v34
	v_add_f32_e32 v42, v3, v42
	v_add_f32_e32 v35, v3, v35
	;; [unrolled: 1-line block ×3, first 2 shown]
	v_fmamk_f32 v16, v32, 0xbf7d64f0, v37
	v_fmac_f32_e32 v37, 0x3f7d64f0, v32
	v_fmamk_f32 v38, v32, 0xbf0a6770, v34
	v_add_f32_e32 v3, v3, v21
	v_add_f32_e32 v21, v22, v40
	v_fmamk_f32 v20, v32, 0xbe903f40, v39
	v_fmac_f32_e32 v39, 0x3e903f40, v32
	v_fmac_f32_e32 v34, 0x3f0a6770, v32
	v_add_f32_e32 v19, v37, v19
	v_add_f32_e32 v32, v38, v36
	v_fmamk_f32 v36, v15, 0x3f7d64f0, v31
	v_mul_f32_e32 v37, 0xbf75a155, v14
	v_add_f32_e32 v22, v45, v41
	v_add_f32_e32 v3, v34, v3
	v_fmac_f32_e32 v31, 0xbf7d64f0, v15
	v_mul_f32_e32 v34, 0x3ed4b147, v14
	v_add_f32_e32 v21, v36, v21
	v_fmamk_f32 v36, v15, 0xbe903f40, v37
	v_add_f32_e32 v20, v20, v42
	v_add_f32_e32 v35, v39, v35
	;; [unrolled: 1-line block ×3, first 2 shown]
	v_fmamk_f32 v31, v15, 0xbf68dda4, v34
	v_fmac_f32_e32 v34, 0x3f68dda4, v15
	v_add_f32_e32 v22, v36, v22
	v_mul_f32_e32 v36, 0x3f575c64, v14
	v_add_f32_e32 v12, v13, v12
	v_mul_f32_e32 v13, 0xbf27a4f4, v14
	v_add_f32_e32 v16, v16, v43
	v_add_f32_e32 v20, v31, v20
	v_add_f32_e32 v31, v34, v35
	v_fmamk_f32 v14, v15, 0x3f0a6770, v36
	v_fmac_f32_e32 v36, 0xbf0a6770, v15
	v_sub_f32_e32 v29, v29, v30
	v_mul_f32_e32 v30, 0xbf27a4f4, v12
	v_fmamk_f32 v34, v15, 0x3f4178ce, v13
	v_fmac_f32_e32 v37, 0x3e903f40, v15
	v_add_f32_e32 v14, v14, v16
	v_add_f32_e32 v16, v36, v19
	v_fmac_f32_e32 v13, 0xbf4178ce, v15
	v_fmamk_f32 v15, v29, 0x3f4178ce, v30
	v_add_f32_e32 v19, v34, v32
	v_mul_f32_e32 v32, 0xbe11bafb, v12
	v_fmac_f32_e32 v30, 0xbf4178ce, v29
	v_add_f32_e32 v3, v13, v3
	v_add_f32_e32 v13, v15, v21
	v_mul_f32_e32 v15, 0x3f575c64, v12
	v_fmamk_f32 v21, v29, 0xbf7d64f0, v32
	v_add_f32_e32 v18, v30, v18
	v_mul_f32_e32 v30, 0xbf75a155, v12
	v_mul_f32_e32 v12, 0x3ed4b147, v12
	v_add_f32_e32 v10, v10, v11
	v_add_f32_e32 v21, v21, v22
	v_fmamk_f32 v34, v29, 0x3f0a6770, v15
	v_fmamk_f32 v22, v29, 0x3e903f40, v30
	;; [unrolled: 1-line block ×3, first 2 shown]
	v_fmac_f32_e32 v12, 0x3f68dda4, v29
	v_fmac_f32_e32 v32, 0x3f7d64f0, v29
	v_add_f32_e32 v20, v34, v20
	v_add_f32_e32 v14, v22, v14
	v_sub_f32_e32 v22, v27, v28
	v_mul_f32_e32 v27, 0xbf75a155, v10
	v_add_f32_e32 v3, v12, v3
	v_mul_f32_e32 v28, 0xbf27a4f4, v10
	v_add_f32_e32 v11, v11, v19
	v_mul_f32_e32 v19, 0x3f575c64, v10
	v_fmamk_f32 v12, v22, 0x3e903f40, v27
	v_fmac_f32_e32 v27, 0xbe903f40, v22
	v_fmac_f32_e32 v15, 0xbf0a6770, v29
	;; [unrolled: 1-line block ×3, first 2 shown]
	v_fmamk_f32 v29, v22, 0xbf0a6770, v19
	v_add_f32_e32 v12, v12, v13
	v_fmamk_f32 v13, v22, 0x3f4178ce, v28
	v_add_f32_e32 v18, v27, v18
	v_mov_b32_e32 v27, 2
	v_add_f32_e32 v21, v29, v21
	v_mul_f32_e32 v29, 0x3ed4b147, v10
	v_add_f32_e32 v13, v13, v20
	v_mov_b32_e32 v20, 0x738
	v_mul_f32_e32 v10, 0xbe11bafb, v10
	v_add_f32_e32 v33, v37, v33
	v_add_f32_e32 v16, v30, v16
	;; [unrolled: 1-line block ×3, first 2 shown]
	v_mul_u32_u24_sdwa v20, v25, v20 dst_sel:DWORD dst_unused:UNUSED_PAD src0_sel:WORD_0 src1_sel:DWORD
	v_lshlrev_b32_sdwa v25, v27, v26 dst_sel:DWORD dst_unused:UNUSED_PAD src0_sel:DWORD src1_sel:BYTE_0
	v_fmamk_f32 v26, v22, 0xbf68dda4, v29
	v_fmamk_f32 v27, v22, 0x3f7d64f0, v10
	v_fmac_f32_e32 v29, 0x3f68dda4, v22
	v_fmac_f32_e32 v10, 0xbf7d64f0, v22
	v_add3_u32 v20, 0, v20, v25
	v_add_f32_e32 v32, v32, v33
	v_fmac_f32_e32 v19, 0x3f0a6770, v22
	v_fmac_f32_e32 v28, 0xbf4178ce, v22
	v_add_f32_e32 v14, v26, v14
	v_add_f32_e32 v11, v27, v11
	;; [unrolled: 1-line block ×4, first 2 shown]
	v_add_nc_u32_e32 v10, 0x200, v20
	v_add_f32_e32 v19, v19, v32
	v_add_f32_e32 v15, v28, v15
	v_add_nc_u32_e32 v22, 0x400, v20
	ds_write2_b32 v20, v17, v12 offset1:42
	ds_write2_b32 v20, v21, v13 offset0:84 offset1:126
	ds_write2_b32 v20, v14, v11 offset0:168 offset1:210
	;; [unrolled: 1-line block ×4, first 2 shown]
	ds_write_b32 v20, v18 offset:1680
.LBB0_27:
	s_or_b32 exec_lo, exec_lo, s1
	s_waitcnt lgkmcnt(0)
	s_barrier
	buffer_gl0_inv
	s_and_saveexec_b32 s0, vcc_lo
	s_cbranch_execz .LBB0_29
; %bb.28:
	v_lshlrev_b32_e32 v18, 1, v23
	v_mov_b32_e32 v19, 0
	v_lshlrev_b32_e32 v12, 1, v2
	v_add_nc_u32_e32 v22, 0x700, v24
	ds_read2_b32 v[20:21], v24 offset1:231
	v_lshlrev_b64 v[10:11], 3, v[18:19]
	v_mov_b32_e32 v13, v19
	v_lshlrev_b64 v[14:15], 3, v[12:13]
	v_add_co_u32 v3, vcc_lo, s8, v10
	v_add_co_ci_u32_e32 v11, vcc_lo, s9, v11, vcc_lo
	v_add_co_u32 v10, vcc_lo, 0x800, v3
	v_add_co_ci_u32_e32 v11, vcc_lo, 0, v11, vcc_lo
	;; [unrolled: 2-line block ×3, first 2 shown]
	global_load_dwordx4 v[10:13], v[10:11], off offset:1632
	v_add_co_u32 v14, vcc_lo, 0x800, v3
	v_add_co_ci_u32_e32 v15, vcc_lo, 0, v15, vcc_lo
	v_lshrrev_b32_e32 v3, 1, v23
	v_add_nc_u32_e32 v23, 0xe40, v24
	v_add_co_u32 v24, vcc_lo, s2, v0
	global_load_dwordx4 v[14:17], v[14:15], off offset:1632
	v_add_co_ci_u32_e32 v25, vcc_lo, s3, v1, vcc_lo
	ds_read2_b32 v[0:1], v22 offset0:14 offset1:245
	ds_read2_b32 v[22:23], v23 offset0:12 offset1:243
	v_mul_hi_u32 v18, 0x8dda5203, v3
	v_mov_b32_e32 v3, v19
	v_lshlrev_b64 v[2:3], 3, v[2:3]
	v_lshrrev_b32_e32 v18, 7, v18
	v_add_co_u32 v2, vcc_lo, v24, v2
	v_mul_u32_u24_e32 v18, 0x39c, v18
	v_add_co_ci_u32_e32 v3, vcc_lo, v25, v3, vcc_lo
	v_add_co_u32 v24, vcc_lo, 0x800, v2
	v_lshlrev_b64 v[18:19], 3, v[18:19]
	v_add_co_ci_u32_e32 v25, vcc_lo, 0, v3, vcc_lo
	v_add_co_u32 v18, vcc_lo, v2, v18
	v_add_co_ci_u32_e32 v19, vcc_lo, v3, v19, vcc_lo
	v_add_co_u32 v26, vcc_lo, 0x1800, v2
	;; [unrolled: 2-line block ×4, first 2 shown]
	v_add_co_ci_u32_e32 v31, vcc_lo, 0, v19, vcc_lo
	s_waitcnt vmcnt(1)
	v_mul_f32_e32 v32, v7, v11
	v_mul_f32_e32 v33, v9, v13
	s_waitcnt lgkmcnt(1)
	v_mul_f32_e32 v11, v1, v11
	s_waitcnt lgkmcnt(0)
	v_mul_f32_e32 v13, v23, v13
	v_fma_f32 v1, v1, v10, -v32
	v_fma_f32 v23, v23, v12, -v33
	v_fmac_f32_e32 v11, v7, v10
	v_fmac_f32_e32 v13, v9, v12
	s_waitcnt vmcnt(0)
	v_mul_f32_e32 v7, v6, v15
	v_mul_f32_e32 v9, v8, v17
	;; [unrolled: 1-line block ×4, first 2 shown]
	v_sub_f32_e32 v17, v11, v13
	v_add_f32_e32 v32, v11, v13
	v_add_f32_e32 v11, v5, v11
	v_fma_f32 v7, v0, v14, -v7
	v_fma_f32 v9, v22, v16, -v9
	v_fmac_f32_e32 v10, v6, v14
	v_fmac_f32_e32 v15, v8, v16
	v_add_f32_e32 v12, v1, v23
	v_fma_f32 v0, -0.5, v32, v5
	v_add_f32_e32 v5, v11, v13
	v_add_f32_e32 v8, v7, v9
	;; [unrolled: 1-line block ×3, first 2 shown]
	v_sub_f32_e32 v33, v1, v23
	v_add_f32_e32 v34, v21, v1
	v_fma_f32 v1, -0.5, v12, v21
	v_add_f32_e32 v12, v20, v7
	v_add_f32_e32 v13, v4, v10
	v_sub_f32_e32 v16, v10, v15
	v_sub_f32_e32 v21, v7, v9
	v_fma_f32 v8, -0.5, v8, v20
	v_fma_f32 v7, -0.5, v11, v4
	v_add_f32_e32 v12, v12, v9
	v_add_f32_e32 v11, v13, v15
	;; [unrolled: 1-line block ×3, first 2 shown]
	v_fmamk_f32 v14, v16, 0xbf5db3d7, v8
	v_fmamk_f32 v13, v21, 0x3f5db3d7, v7
	v_fmac_f32_e32 v8, 0x3f5db3d7, v16
	v_fmac_f32_e32 v7, 0xbf5db3d7, v21
	v_fmamk_f32 v10, v17, 0xbf5db3d7, v1
	v_fmamk_f32 v9, v33, 0x3f5db3d7, v0
	v_fmac_f32_e32 v1, 0x3f5db3d7, v17
	v_fmac_f32_e32 v0, 0xbf5db3d7, v33
	global_store_dwordx2 v[2:3], v[11:12], off
	global_store_dwordx2 v[24:25], v[7:8], off offset:1648
	global_store_dwordx2 v[26:27], v[13:14], off offset:1248
	;; [unrolled: 1-line block ×5, first 2 shown]
.LBB0_29:
	s_endpgm
	.section	.rodata,"a",@progbits
	.p2align	6, 0x0
	.amdhsa_kernel fft_rtc_back_len1386_factors_2_7_3_11_3_wgs_231_tpt_231_halfLds_sp_ip_CI_unitstride_sbrr_dirReg
		.amdhsa_group_segment_fixed_size 0
		.amdhsa_private_segment_fixed_size 0
		.amdhsa_kernarg_size 88
		.amdhsa_user_sgpr_count 6
		.amdhsa_user_sgpr_private_segment_buffer 1
		.amdhsa_user_sgpr_dispatch_ptr 0
		.amdhsa_user_sgpr_queue_ptr 0
		.amdhsa_user_sgpr_kernarg_segment_ptr 1
		.amdhsa_user_sgpr_dispatch_id 0
		.amdhsa_user_sgpr_flat_scratch_init 0
		.amdhsa_user_sgpr_private_segment_size 0
		.amdhsa_wavefront_size32 1
		.amdhsa_uses_dynamic_stack 0
		.amdhsa_system_sgpr_private_segment_wavefront_offset 0
		.amdhsa_system_sgpr_workgroup_id_x 1
		.amdhsa_system_sgpr_workgroup_id_y 0
		.amdhsa_system_sgpr_workgroup_id_z 0
		.amdhsa_system_sgpr_workgroup_info 0
		.amdhsa_system_vgpr_workitem_id 0
		.amdhsa_next_free_vgpr 59
		.amdhsa_next_free_sgpr 21
		.amdhsa_reserve_vcc 1
		.amdhsa_reserve_flat_scratch 0
		.amdhsa_float_round_mode_32 0
		.amdhsa_float_round_mode_16_64 0
		.amdhsa_float_denorm_mode_32 3
		.amdhsa_float_denorm_mode_16_64 3
		.amdhsa_dx10_clamp 1
		.amdhsa_ieee_mode 1
		.amdhsa_fp16_overflow 0
		.amdhsa_workgroup_processor_mode 1
		.amdhsa_memory_ordered 1
		.amdhsa_forward_progress 0
		.amdhsa_shared_vgpr_count 0
		.amdhsa_exception_fp_ieee_invalid_op 0
		.amdhsa_exception_fp_denorm_src 0
		.amdhsa_exception_fp_ieee_div_zero 0
		.amdhsa_exception_fp_ieee_overflow 0
		.amdhsa_exception_fp_ieee_underflow 0
		.amdhsa_exception_fp_ieee_inexact 0
		.amdhsa_exception_int_div_zero 0
	.end_amdhsa_kernel
	.text
.Lfunc_end0:
	.size	fft_rtc_back_len1386_factors_2_7_3_11_3_wgs_231_tpt_231_halfLds_sp_ip_CI_unitstride_sbrr_dirReg, .Lfunc_end0-fft_rtc_back_len1386_factors_2_7_3_11_3_wgs_231_tpt_231_halfLds_sp_ip_CI_unitstride_sbrr_dirReg
                                        ; -- End function
	.section	.AMDGPU.csdata,"",@progbits
; Kernel info:
; codeLenInByte = 6432
; NumSgprs: 23
; NumVgprs: 59
; ScratchSize: 0
; MemoryBound: 0
; FloatMode: 240
; IeeeMode: 1
; LDSByteSize: 0 bytes/workgroup (compile time only)
; SGPRBlocks: 2
; VGPRBlocks: 7
; NumSGPRsForWavesPerEU: 23
; NumVGPRsForWavesPerEU: 59
; Occupancy: 16
; WaveLimiterHint : 1
; COMPUTE_PGM_RSRC2:SCRATCH_EN: 0
; COMPUTE_PGM_RSRC2:USER_SGPR: 6
; COMPUTE_PGM_RSRC2:TRAP_HANDLER: 0
; COMPUTE_PGM_RSRC2:TGID_X_EN: 1
; COMPUTE_PGM_RSRC2:TGID_Y_EN: 0
; COMPUTE_PGM_RSRC2:TGID_Z_EN: 0
; COMPUTE_PGM_RSRC2:TIDIG_COMP_CNT: 0
	.text
	.p2alignl 6, 3214868480
	.fill 48, 4, 3214868480
	.type	__hip_cuid_32b5a20bd3149c5a,@object ; @__hip_cuid_32b5a20bd3149c5a
	.section	.bss,"aw",@nobits
	.globl	__hip_cuid_32b5a20bd3149c5a
__hip_cuid_32b5a20bd3149c5a:
	.byte	0                               ; 0x0
	.size	__hip_cuid_32b5a20bd3149c5a, 1

	.ident	"AMD clang version 19.0.0git (https://github.com/RadeonOpenCompute/llvm-project roc-6.4.0 25133 c7fe45cf4b819c5991fe208aaa96edf142730f1d)"
	.section	".note.GNU-stack","",@progbits
	.addrsig
	.addrsig_sym __hip_cuid_32b5a20bd3149c5a
	.amdgpu_metadata
---
amdhsa.kernels:
  - .args:
      - .actual_access:  read_only
        .address_space:  global
        .offset:         0
        .size:           8
        .value_kind:     global_buffer
      - .offset:         8
        .size:           8
        .value_kind:     by_value
      - .actual_access:  read_only
        .address_space:  global
        .offset:         16
        .size:           8
        .value_kind:     global_buffer
      - .actual_access:  read_only
        .address_space:  global
        .offset:         24
        .size:           8
        .value_kind:     global_buffer
      - .offset:         32
        .size:           8
        .value_kind:     by_value
      - .actual_access:  read_only
        .address_space:  global
        .offset:         40
        .size:           8
        .value_kind:     global_buffer
      - .actual_access:  read_only
        .address_space:  global
        .offset:         48
        .size:           8
        .value_kind:     global_buffer
      - .offset:         56
        .size:           4
        .value_kind:     by_value
      - .actual_access:  read_only
        .address_space:  global
        .offset:         64
        .size:           8
        .value_kind:     global_buffer
      - .actual_access:  read_only
        .address_space:  global
        .offset:         72
        .size:           8
        .value_kind:     global_buffer
      - .address_space:  global
        .offset:         80
        .size:           8
        .value_kind:     global_buffer
    .group_segment_fixed_size: 0
    .kernarg_segment_align: 8
    .kernarg_segment_size: 88
    .language:       OpenCL C
    .language_version:
      - 2
      - 0
    .max_flat_workgroup_size: 231
    .name:           fft_rtc_back_len1386_factors_2_7_3_11_3_wgs_231_tpt_231_halfLds_sp_ip_CI_unitstride_sbrr_dirReg
    .private_segment_fixed_size: 0
    .sgpr_count:     23
    .sgpr_spill_count: 0
    .symbol:         fft_rtc_back_len1386_factors_2_7_3_11_3_wgs_231_tpt_231_halfLds_sp_ip_CI_unitstride_sbrr_dirReg.kd
    .uniform_work_group_size: 1
    .uses_dynamic_stack: false
    .vgpr_count:     59
    .vgpr_spill_count: 0
    .wavefront_size: 32
    .workgroup_processor_mode: 1
amdhsa.target:   amdgcn-amd-amdhsa--gfx1030
amdhsa.version:
  - 1
  - 2
...

	.end_amdgpu_metadata
